;; amdgpu-corpus repo=ROCm/rocFFT kind=compiled arch=gfx906 opt=O3
	.text
	.amdgcn_target "amdgcn-amd-amdhsa--gfx906"
	.amdhsa_code_object_version 6
	.protected	fft_rtc_fwd_len1620_factors_10_3_3_6_3_wgs_162_tpt_162_halfLds_dp_op_CI_CI_unitstride_sbrr_R2C_dirReg ; -- Begin function fft_rtc_fwd_len1620_factors_10_3_3_6_3_wgs_162_tpt_162_halfLds_dp_op_CI_CI_unitstride_sbrr_R2C_dirReg
	.globl	fft_rtc_fwd_len1620_factors_10_3_3_6_3_wgs_162_tpt_162_halfLds_dp_op_CI_CI_unitstride_sbrr_R2C_dirReg
	.p2align	8
	.type	fft_rtc_fwd_len1620_factors_10_3_3_6_3_wgs_162_tpt_162_halfLds_dp_op_CI_CI_unitstride_sbrr_R2C_dirReg,@function
fft_rtc_fwd_len1620_factors_10_3_3_6_3_wgs_162_tpt_162_halfLds_dp_op_CI_CI_unitstride_sbrr_R2C_dirReg: ; @fft_rtc_fwd_len1620_factors_10_3_3_6_3_wgs_162_tpt_162_halfLds_dp_op_CI_CI_unitstride_sbrr_R2C_dirReg
; %bb.0:
	s_load_dwordx4 s[8:11], s[4:5], 0x58
	s_load_dwordx4 s[12:15], s[4:5], 0x0
	;; [unrolled: 1-line block ×3, first 2 shown]
	v_mul_u32_u24_e32 v1, 0x195, v0
	v_add_u32_sdwa v5, s6, v1 dst_sel:DWORD dst_unused:UNUSED_PAD src0_sel:DWORD src1_sel:WORD_1
	v_mov_b32_e32 v3, 0
	s_waitcnt lgkmcnt(0)
	v_cmp_lt_u64_e64 s[0:1], s[14:15], 2
	v_mov_b32_e32 v1, 0
	v_mov_b32_e32 v6, v3
	s_and_b64 vcc, exec, s[0:1]
	v_mov_b32_e32 v2, 0
	s_cbranch_vccnz .LBB0_8
; %bb.1:
	s_load_dwordx2 s[0:1], s[4:5], 0x10
	s_add_u32 s2, s18, 8
	s_addc_u32 s3, s19, 0
	s_add_u32 s6, s16, 8
	v_mov_b32_e32 v1, 0
	s_addc_u32 s7, s17, 0
	v_mov_b32_e32 v2, 0
	s_waitcnt lgkmcnt(0)
	s_add_u32 s20, s0, 8
	v_mov_b32_e32 v49, v2
	s_addc_u32 s21, s1, 0
	s_mov_b64 s[22:23], 1
	v_mov_b32_e32 v48, v1
.LBB0_2:                                ; =>This Inner Loop Header: Depth=1
	s_load_dwordx2 s[24:25], s[20:21], 0x0
                                        ; implicit-def: $vgpr50_vgpr51
	s_waitcnt lgkmcnt(0)
	v_or_b32_e32 v4, s25, v6
	v_cmp_ne_u64_e32 vcc, 0, v[3:4]
	s_and_saveexec_b64 s[0:1], vcc
	s_xor_b64 s[26:27], exec, s[0:1]
	s_cbranch_execz .LBB0_4
; %bb.3:                                ;   in Loop: Header=BB0_2 Depth=1
	v_cvt_f32_u32_e32 v4, s24
	v_cvt_f32_u32_e32 v7, s25
	s_sub_u32 s0, 0, s24
	s_subb_u32 s1, 0, s25
	v_mac_f32_e32 v4, 0x4f800000, v7
	v_rcp_f32_e32 v4, v4
	v_mul_f32_e32 v4, 0x5f7ffffc, v4
	v_mul_f32_e32 v7, 0x2f800000, v4
	v_trunc_f32_e32 v7, v7
	v_mac_f32_e32 v4, 0xcf800000, v7
	v_cvt_u32_f32_e32 v7, v7
	v_cvt_u32_f32_e32 v4, v4
	v_mul_lo_u32 v8, s0, v7
	v_mul_hi_u32 v9, s0, v4
	v_mul_lo_u32 v11, s1, v4
	v_mul_lo_u32 v10, s0, v4
	v_add_u32_e32 v8, v9, v8
	v_add_u32_e32 v8, v8, v11
	v_mul_hi_u32 v9, v4, v10
	v_mul_lo_u32 v11, v4, v8
	v_mul_hi_u32 v13, v4, v8
	v_mul_hi_u32 v12, v7, v10
	v_mul_lo_u32 v10, v7, v10
	v_mul_hi_u32 v14, v7, v8
	v_add_co_u32_e32 v9, vcc, v9, v11
	v_addc_co_u32_e32 v11, vcc, 0, v13, vcc
	v_mul_lo_u32 v8, v7, v8
	v_add_co_u32_e32 v9, vcc, v9, v10
	v_addc_co_u32_e32 v9, vcc, v11, v12, vcc
	v_addc_co_u32_e32 v10, vcc, 0, v14, vcc
	v_add_co_u32_e32 v8, vcc, v9, v8
	v_addc_co_u32_e32 v9, vcc, 0, v10, vcc
	v_add_co_u32_e32 v4, vcc, v4, v8
	v_addc_co_u32_e32 v7, vcc, v7, v9, vcc
	v_mul_lo_u32 v8, s0, v7
	v_mul_hi_u32 v9, s0, v4
	v_mul_lo_u32 v10, s1, v4
	v_mul_lo_u32 v11, s0, v4
	v_add_u32_e32 v8, v9, v8
	v_add_u32_e32 v8, v8, v10
	v_mul_lo_u32 v12, v4, v8
	v_mul_hi_u32 v13, v4, v11
	v_mul_hi_u32 v14, v4, v8
	v_mul_hi_u32 v10, v7, v11
	v_mul_lo_u32 v11, v7, v11
	v_mul_hi_u32 v9, v7, v8
	v_add_co_u32_e32 v12, vcc, v13, v12
	v_addc_co_u32_e32 v13, vcc, 0, v14, vcc
	v_mul_lo_u32 v8, v7, v8
	v_add_co_u32_e32 v11, vcc, v12, v11
	v_addc_co_u32_e32 v10, vcc, v13, v10, vcc
	v_addc_co_u32_e32 v9, vcc, 0, v9, vcc
	v_add_co_u32_e32 v8, vcc, v10, v8
	v_addc_co_u32_e32 v9, vcc, 0, v9, vcc
	v_add_co_u32_e32 v4, vcc, v4, v8
	v_addc_co_u32_e32 v9, vcc, v7, v9, vcc
	v_mad_u64_u32 v[7:8], s[0:1], v5, v9, 0
	v_mul_hi_u32 v10, v5, v4
	v_add_co_u32_e32 v11, vcc, v10, v7
	v_addc_co_u32_e32 v12, vcc, 0, v8, vcc
	v_mad_u64_u32 v[7:8], s[0:1], v6, v4, 0
	v_mad_u64_u32 v[9:10], s[0:1], v6, v9, 0
	v_add_co_u32_e32 v4, vcc, v11, v7
	v_addc_co_u32_e32 v4, vcc, v12, v8, vcc
	v_addc_co_u32_e32 v7, vcc, 0, v10, vcc
	v_add_co_u32_e32 v4, vcc, v4, v9
	v_addc_co_u32_e32 v9, vcc, 0, v7, vcc
	v_mul_lo_u32 v10, s25, v4
	v_mul_lo_u32 v11, s24, v9
	v_mad_u64_u32 v[7:8], s[0:1], s24, v4, 0
	v_add3_u32 v8, v8, v11, v10
	v_sub_u32_e32 v10, v6, v8
	v_mov_b32_e32 v11, s25
	v_sub_co_u32_e32 v7, vcc, v5, v7
	v_subb_co_u32_e64 v10, s[0:1], v10, v11, vcc
	v_subrev_co_u32_e64 v11, s[0:1], s24, v7
	v_subbrev_co_u32_e64 v10, s[0:1], 0, v10, s[0:1]
	v_cmp_le_u32_e64 s[0:1], s25, v10
	v_cndmask_b32_e64 v12, 0, -1, s[0:1]
	v_cmp_le_u32_e64 s[0:1], s24, v11
	v_cndmask_b32_e64 v11, 0, -1, s[0:1]
	v_cmp_eq_u32_e64 s[0:1], s25, v10
	v_cndmask_b32_e64 v10, v12, v11, s[0:1]
	v_add_co_u32_e64 v11, s[0:1], 2, v4
	v_addc_co_u32_e64 v12, s[0:1], 0, v9, s[0:1]
	v_add_co_u32_e64 v13, s[0:1], 1, v4
	v_addc_co_u32_e64 v14, s[0:1], 0, v9, s[0:1]
	v_subb_co_u32_e32 v8, vcc, v6, v8, vcc
	v_cmp_ne_u32_e64 s[0:1], 0, v10
	v_cmp_le_u32_e32 vcc, s25, v8
	v_cndmask_b32_e64 v10, v14, v12, s[0:1]
	v_cndmask_b32_e64 v12, 0, -1, vcc
	v_cmp_le_u32_e32 vcc, s24, v7
	v_cndmask_b32_e64 v7, 0, -1, vcc
	v_cmp_eq_u32_e32 vcc, s25, v8
	v_cndmask_b32_e32 v7, v12, v7, vcc
	v_cmp_ne_u32_e32 vcc, 0, v7
	v_cndmask_b32_e64 v7, v13, v11, s[0:1]
	v_cndmask_b32_e32 v51, v9, v10, vcc
	v_cndmask_b32_e32 v50, v4, v7, vcc
.LBB0_4:                                ;   in Loop: Header=BB0_2 Depth=1
	s_andn2_saveexec_b64 s[0:1], s[26:27]
	s_cbranch_execz .LBB0_6
; %bb.5:                                ;   in Loop: Header=BB0_2 Depth=1
	v_cvt_f32_u32_e32 v4, s24
	s_sub_i32 s26, 0, s24
	v_mov_b32_e32 v51, v3
	v_rcp_iflag_f32_e32 v4, v4
	v_mul_f32_e32 v4, 0x4f7ffffe, v4
	v_cvt_u32_f32_e32 v4, v4
	v_mul_lo_u32 v7, s26, v4
	v_mul_hi_u32 v7, v4, v7
	v_add_u32_e32 v4, v4, v7
	v_mul_hi_u32 v4, v5, v4
	v_mul_lo_u32 v7, v4, s24
	v_add_u32_e32 v8, 1, v4
	v_sub_u32_e32 v7, v5, v7
	v_subrev_u32_e32 v9, s24, v7
	v_cmp_le_u32_e32 vcc, s24, v7
	v_cndmask_b32_e32 v7, v7, v9, vcc
	v_cndmask_b32_e32 v4, v4, v8, vcc
	v_add_u32_e32 v8, 1, v4
	v_cmp_le_u32_e32 vcc, s24, v7
	v_cndmask_b32_e32 v50, v4, v8, vcc
.LBB0_6:                                ;   in Loop: Header=BB0_2 Depth=1
	s_or_b64 exec, exec, s[0:1]
	v_mul_lo_u32 v4, v51, s24
	v_mul_lo_u32 v9, v50, s25
	v_mad_u64_u32 v[7:8], s[0:1], v50, s24, 0
	s_load_dwordx2 s[0:1], s[6:7], 0x0
	s_load_dwordx2 s[24:25], s[2:3], 0x0
	v_add3_u32 v4, v8, v9, v4
	v_sub_co_u32_e32 v5, vcc, v5, v7
	v_subb_co_u32_e32 v4, vcc, v6, v4, vcc
	s_waitcnt lgkmcnt(0)
	v_mul_lo_u32 v6, s0, v4
	v_mul_lo_u32 v7, s1, v5
	v_mad_u64_u32 v[1:2], s[0:1], s0, v5, v[1:2]
	v_mul_lo_u32 v4, s24, v4
	v_mul_lo_u32 v8, s25, v5
	v_mad_u64_u32 v[48:49], s[0:1], s24, v5, v[48:49]
	s_add_u32 s22, s22, 1
	s_addc_u32 s23, s23, 0
	s_add_u32 s2, s2, 8
	v_add3_u32 v49, v8, v49, v4
	s_addc_u32 s3, s3, 0
	v_mov_b32_e32 v4, s14
	s_add_u32 s6, s6, 8
	v_mov_b32_e32 v5, s15
	s_addc_u32 s7, s7, 0
	v_cmp_ge_u64_e32 vcc, s[22:23], v[4:5]
	s_add_u32 s20, s20, 8
	v_add3_u32 v2, v7, v2, v6
	s_addc_u32 s21, s21, 0
	s_cbranch_vccnz .LBB0_9
; %bb.7:                                ;   in Loop: Header=BB0_2 Depth=1
	v_mov_b32_e32 v5, v50
	v_mov_b32_e32 v6, v51
	s_branch .LBB0_2
.LBB0_8:
	v_mov_b32_e32 v49, v2
	v_mov_b32_e32 v51, v6
	;; [unrolled: 1-line block ×4, first 2 shown]
.LBB0_9:
	s_load_dwordx2 s[4:5], s[4:5], 0x28
	s_lshl_b64 s[6:7], s[14:15], 3
	s_add_u32 s2, s18, s6
	s_addc_u32 s3, s19, s7
                                        ; implicit-def: $vgpr52
                                        ; implicit-def: $vgpr54
                                        ; implicit-def: $vgpr57
                                        ; implicit-def: $vgpr56
	s_waitcnt lgkmcnt(0)
	v_cmp_gt_u64_e64 s[0:1], s[4:5], v[50:51]
	v_cmp_le_u64_e32 vcc, s[4:5], v[50:51]
	s_and_saveexec_b64 s[4:5], vcc
	s_xor_b64 s[4:5], exec, s[4:5]
; %bb.10:
	s_mov_b32 s14, 0x1948b10
	v_mul_hi_u32 v1, v0, s14
	v_mul_u32_u24_e32 v1, 0xa2, v1
	v_sub_u32_e32 v52, v0, v1
	v_add_u32_e32 v54, 0xa2, v52
	v_add_u32_e32 v57, 0x144, v52
	;; [unrolled: 1-line block ×3, first 2 shown]
                                        ; implicit-def: $vgpr0
                                        ; implicit-def: $vgpr1_vgpr2
; %bb.11:
	s_andn2_saveexec_b64 s[4:5], s[4:5]
	s_cbranch_execz .LBB0_13
; %bb.12:
	s_add_u32 s6, s16, s6
	s_addc_u32 s7, s17, s7
	s_load_dwordx2 s[6:7], s[6:7], 0x0
	s_mov_b32 s14, 0x1948b10
	v_mul_hi_u32 v5, v0, s14
	s_waitcnt lgkmcnt(0)
	v_mul_lo_u32 v6, s7, v50
	v_mul_lo_u32 v7, s6, v51
	v_mad_u64_u32 v[3:4], s[6:7], s6, v50, 0
	v_mul_u32_u24_e32 v5, 0xa2, v5
	v_sub_u32_e32 v52, v0, v5
	v_add3_u32 v4, v4, v7, v6
	v_lshlrev_b64 v[3:4], 4, v[3:4]
	v_mov_b32_e32 v0, s9
	v_add_co_u32_e32 v3, vcc, s8, v3
	v_addc_co_u32_e32 v4, vcc, v0, v4, vcc
	v_lshlrev_b64 v[0:1], 4, v[1:2]
	v_lshlrev_b32_e32 v46, 4, v52
	v_add_co_u32_e32 v0, vcc, v3, v0
	v_addc_co_u32_e32 v1, vcc, v4, v1, vcc
	v_add_co_u32_e32 v24, vcc, v0, v46
	v_addc_co_u32_e32 v25, vcc, 0, v1, vcc
	s_movk_i32 s6, 0x1000
	v_add_co_u32_e32 v16, vcc, s6, v24
	v_addc_co_u32_e32 v17, vcc, 0, v25, vcc
	s_movk_i32 s6, 0x2000
	;; [unrolled: 3-line block ×3, first 2 shown]
	v_add_co_u32_e32 v40, vcc, s6, v24
	v_addc_co_u32_e32 v41, vcc, 0, v25, vcc
	v_add_co_u32_e32 v42, vcc, 0x4000, v24
	v_addc_co_u32_e32 v43, vcc, 0, v25, vcc
	v_add_co_u32_e32 v44, vcc, 0x5000, v24
	global_load_dwordx4 v[0:3], v[24:25], off
	global_load_dwordx4 v[4:7], v[24:25], off offset:2592
	global_load_dwordx4 v[8:11], v[16:17], off offset:1088
	;; [unrolled: 1-line block ×3, first 2 shown]
	s_nop 0
	global_load_dwordx4 v[16:19], v[26:27], off offset:2176
	global_load_dwordx4 v[20:23], v[40:41], off offset:672
	v_addc_co_u32_e32 v45, vcc, 0, v25, vcc
	global_load_dwordx4 v[24:27], v[40:41], off offset:3264
	global_load_dwordx4 v[28:31], v[42:43], off offset:1760
	;; [unrolled: 1-line block ×4, first 2 shown]
	v_add_u32_e32 v54, 0xa2, v52
	v_add_u32_e32 v57, 0x144, v52
	;; [unrolled: 1-line block ×4, first 2 shown]
	s_waitcnt vmcnt(9)
	ds_write_b128 v40, v[0:3]
	s_waitcnt vmcnt(8)
	ds_write_b128 v40, v[4:7] offset:2592
	s_waitcnt vmcnt(7)
	ds_write_b128 v40, v[8:11] offset:5184
	;; [unrolled: 2-line block ×9, first 2 shown]
.LBB0_13:
	s_or_b64 exec, exec, s[4:5]
	v_lshl_add_u32 v60, v52, 4, 0
	s_load_dwordx2 s[6:7], s[2:3], 0x0
	s_waitcnt lgkmcnt(0)
	s_barrier
	ds_read_b128 v[22:25], v60
	ds_read_b128 v[12:15], v60 offset:2592
	ds_read_b128 v[26:29], v60 offset:5184
	;; [unrolled: 1-line block ×9, first 2 shown]
	s_waitcnt lgkmcnt(7)
	v_add_f64 v[20:21], v[22:23], v[26:27]
	s_waitcnt lgkmcnt(5)
	v_add_f64 v[42:43], v[30:31], v[34:35]
	v_add_f64 v[58:59], v[32:33], -v[36:37]
	s_waitcnt lgkmcnt(1)
	v_add_f64 v[63:64], v[26:27], v[38:39]
	v_add_f64 v[44:45], v[28:29], -v[40:41]
	v_add_f64 v[61:62], v[26:27], -v[30:31]
	v_add_f64 v[65:66], v[38:39], -v[34:35]
	s_mov_b32 s2, 0x134454ff
	v_add_f64 v[20:21], v[20:21], v[30:31]
	v_fma_f64 v[42:43], v[42:43], -0.5, v[22:23]
	s_mov_b32 s3, 0x3fee6f0e
	v_fma_f64 v[22:23], v[63:64], -0.5, v[22:23]
	s_mov_b32 s15, 0xbfee6f0e
	s_mov_b32 s14, s2
	v_add_f64 v[61:62], v[61:62], v[65:66]
	v_add_f64 v[71:72], v[24:25], v[28:29]
	;; [unrolled: 1-line block ×3, first 2 shown]
	v_fma_f64 v[46:47], v[44:45], s[2:3], v[42:43]
	v_fma_f64 v[42:43], v[44:45], s[14:15], v[42:43]
	;; [unrolled: 1-line block ×3, first 2 shown]
	v_add_f64 v[67:68], v[30:31], -v[26:27]
	v_add_f64 v[69:70], v[34:35], -v[38:39]
	v_fma_f64 v[22:23], v[58:59], s[2:3], v[22:23]
	s_mov_b32 s4, 0x4755a5e
	s_mov_b32 s5, 0x3fe2cf23
	;; [unrolled: 1-line block ×4, first 2 shown]
	v_add_f64 v[20:21], v[20:21], v[38:39]
	v_fma_f64 v[46:47], v[58:59], s[4:5], v[46:47]
	v_add_f64 v[63:64], v[32:33], v[36:37]
	v_add_f64 v[26:27], v[26:27], -v[38:39]
	v_fma_f64 v[38:39], v[58:59], s[16:17], v[42:43]
	v_fma_f64 v[42:43], v[44:45], s[4:5], v[65:66]
	v_add_f64 v[65:66], v[71:72], v[32:33]
	v_add_f64 v[58:59], v[67:68], v[69:70]
	v_fma_f64 v[22:23], v[44:45], s[16:17], v[22:23]
	v_add_f64 v[44:45], v[28:29], v[40:41]
	s_mov_b32 s8, 0x372fe950
	s_mov_b32 s9, 0x3fd3c6ef
	v_fma_f64 v[63:64], v[63:64], -0.5, v[24:25]
	v_fma_f64 v[46:47], v[61:62], s[8:9], v[46:47]
	v_add_f64 v[65:66], v[65:66], v[36:37]
	v_fma_f64 v[38:39], v[61:62], s[8:9], v[38:39]
	v_add_f64 v[61:62], v[8:9], v[4:5]
	v_add_f64 v[30:31], v[30:31], -v[34:35]
	v_add_f64 v[34:35], v[28:29], -v[32:33]
	;; [unrolled: 1-line block ×3, first 2 shown]
	v_fma_f64 v[24:25], v[44:45], -0.5, v[24:25]
	v_fma_f64 v[44:45], v[58:59], s[8:9], v[22:23]
	v_add_f64 v[22:23], v[12:13], v[16:17]
	v_fma_f64 v[67:68], v[26:27], s[14:15], v[63:64]
	v_fma_f64 v[42:43], v[58:59], s[8:9], v[42:43]
	v_add_f64 v[58:59], v[65:66], v[40:41]
	v_fma_f64 v[61:62], v[61:62], -0.5, v[12:13]
	s_waitcnt lgkmcnt(0)
	v_add_f64 v[65:66], v[18:19], -v[2:3]
	v_fma_f64 v[63:64], v[26:27], s[2:3], v[63:64]
	v_add_f64 v[34:35], v[34:35], v[69:70]
	v_fma_f64 v[69:70], v[30:31], s[2:3], v[24:25]
	v_add_f64 v[28:29], v[32:33], -v[28:29]
	v_add_f64 v[32:33], v[36:37], -v[40:41]
	v_fma_f64 v[24:25], v[30:31], s[14:15], v[24:25]
	v_add_f64 v[22:23], v[22:23], v[8:9]
	v_fma_f64 v[67:68], v[30:31], s[16:17], v[67:68]
	v_fma_f64 v[36:37], v[65:66], s[2:3], v[61:62]
	v_add_f64 v[40:41], v[10:11], -v[6:7]
	v_add_f64 v[71:72], v[16:17], -v[8:9]
	v_add_f64 v[73:74], v[0:1], -v[4:5]
	v_fma_f64 v[30:31], v[30:31], s[4:5], v[63:64]
	v_add_f64 v[63:64], v[16:17], v[0:1]
	v_fma_f64 v[69:70], v[26:27], s[16:17], v[69:70]
	v_add_f64 v[28:29], v[28:29], v[32:33]
	;; [unrolled: 2-line block ×3, first 2 shown]
	v_fma_f64 v[67:68], v[34:35], s[8:9], v[67:68]
	v_fma_f64 v[32:33], v[40:41], s[4:5], v[36:37]
	v_add_f64 v[36:37], v[71:72], v[73:74]
	v_fma_f64 v[22:23], v[34:35], s[8:9], v[30:31]
	v_fma_f64 v[12:13], v[63:64], -0.5, v[12:13]
	v_add_f64 v[34:35], v[10:11], v[6:7]
	v_fma_f64 v[30:31], v[65:66], s[14:15], v[61:62]
	v_fma_f64 v[61:62], v[28:29], s[8:9], v[69:70]
	;; [unrolled: 1-line block ×3, first 2 shown]
	v_add_f64 v[28:29], v[26:27], v[0:1]
	v_add_f64 v[26:27], v[18:19], v[2:3]
	v_fma_f64 v[24:25], v[36:37], s[8:9], v[32:33]
	v_fma_f64 v[32:33], v[40:41], s[14:15], v[12:13]
	v_fma_f64 v[34:35], v[34:35], -0.5, v[14:15]
	v_add_f64 v[69:70], v[16:17], -v[0:1]
	v_add_f64 v[16:17], v[8:9], -v[16:17]
	v_add_f64 v[0:1], v[4:5], -v[0:1]
	v_add_f64 v[4:5], v[8:9], -v[4:5]
	v_fma_f64 v[8:9], v[26:27], -0.5, v[14:15]
	v_add_f64 v[14:15], v[14:15], v[18:19]
	v_fma_f64 v[30:31], v[40:41], s[16:17], v[30:31]
	v_fma_f64 v[26:27], v[65:66], s[4:5], v[32:33]
	;; [unrolled: 1-line block ×4, first 2 shown]
	v_add_f64 v[40:41], v[18:19], -v[10:11]
	v_add_f64 v[71:72], v[2:3], -v[6:7]
	v_add_f64 v[0:1], v[16:17], v[0:1]
	v_fma_f64 v[16:17], v[4:5], s[2:3], v[8:9]
	v_add_f64 v[18:19], v[10:11], -v[18:19]
	v_add_f64 v[73:74], v[6:7], -v[2:3]
	v_fma_f64 v[8:9], v[4:5], s[14:15], v[8:9]
	v_add_f64 v[10:11], v[14:15], v[10:11]
	v_fma_f64 v[34:35], v[69:70], s[2:3], v[34:35]
	v_fma_f64 v[14:15], v[4:5], s[16:17], v[32:33]
	v_add_f64 v[32:33], v[40:41], v[71:72]
	v_fma_f64 v[12:13], v[65:66], s[16:17], v[12:13]
	;; [unrolled: 3-line block ×3, first 2 shown]
	v_add_f64 v[6:7], v[10:11], v[6:7]
	v_fma_f64 v[4:5], v[4:5], s[4:5], v[34:35]
	s_mov_b32 s18, 0x9b97f4a8
	s_mov_b32 s19, 0x3fe9e377
	v_fma_f64 v[10:11], v[32:33], s[8:9], v[14:15]
	v_mul_f64 v[14:15], v[24:25], s[18:19]
	v_fma_f64 v[26:27], v[0:1], s[8:9], v[26:27]
	v_fma_f64 v[0:1], v[0:1], s[8:9], v[12:13]
	;; [unrolled: 1-line block ×5, first 2 shown]
	v_add_f64 v[2:3], v[6:7], v[2:3]
	v_fma_f64 v[6:7], v[32:33], s[8:9], v[4:5]
	v_fma_f64 v[34:35], v[10:11], s[4:5], v[14:15]
	v_mul_f64 v[14:15], v[24:25], s[16:17]
	v_mul_f64 v[24:25], v[26:27], s[14:15]
	;; [unrolled: 1-line block ×7, first 2 shown]
	v_add_f64 v[4:5], v[20:21], v[28:29]
	v_fma_f64 v[73:74], v[10:11], s[18:19], v[14:15]
	v_fma_f64 v[75:76], v[12:13], s[8:9], v[24:25]
	;; [unrolled: 1-line block ×3, first 2 shown]
	v_fma_f64 v[69:70], v[8:9], s[2:3], -v[18:19]
	v_fma_f64 v[77:78], v[0:1], s[14:15], -v[36:37]
	;; [unrolled: 1-line block ×4, first 2 shown]
	v_add_f64 v[6:7], v[58:59], v[2:3]
	v_add_f64 v[8:9], v[46:47], v[34:35]
	;; [unrolled: 1-line block ×9, first 2 shown]
	v_add_f64 v[28:29], v[20:21], -v[28:29]
	v_add_f64 v[30:31], v[58:59], -v[2:3]
	;; [unrolled: 1-line block ×4, first 2 shown]
	s_movk_i32 s2, 0x90
	v_add_f64 v[36:37], v[42:43], -v[65:66]
	v_add_f64 v[40:41], v[44:45], -v[69:70]
	;; [unrolled: 1-line block ×5, first 2 shown]
	v_mad_u32_u24 v20, v52, s2, v60
	v_lshl_add_u32 v62, v57, 4, 0
	v_add_f64 v[2:3], v[22:23], -v[79:80]
	s_barrier
	ds_write_b128 v20, v[4:7]
	ds_write_b128 v20, v[8:11] offset:16
	ds_write_b128 v20, v[12:15] offset:32
	;; [unrolled: 1-line block ×9, first 2 shown]
	s_waitcnt lgkmcnt(0)
	s_barrier
	ds_read_b128 v[12:15], v60
	ds_read_b128 v[40:43], v60 offset:8640
	v_lshl_add_u32 v63, v54, 4, 0
	ds_read_b128 v[44:47], v60 offset:17280
	ds_read_b128 v[32:35], v60 offset:19872
	ds_read_b128 v[4:7], v62
	ds_read_b128 v[36:39], v60 offset:11232
	ds_read_b128 v[28:31], v60 offset:13824
	ds_read_b128 v[8:11], v63
	ds_read_b128 v[24:27], v60 offset:22464
	v_cmp_gt_u32_e32 vcc, 54, v52
	v_lshl_add_u32 v61, v56, 4, 0
                                        ; implicit-def: $vgpr22_vgpr23
                                        ; implicit-def: $vgpr18_vgpr19
	s_and_saveexec_b64 s[2:3], vcc
	s_cbranch_execz .LBB0_15
; %bb.14:
	ds_read_b128 v[0:3], v61
	ds_read_b128 v[16:19], v60 offset:16416
	ds_read_b128 v[20:23], v60 offset:25056
.LBB0_15:
	s_or_b64 exec, exec, s[2:3]
	s_movk_i32 s2, 0xcd
	v_mul_lo_u16_sdwa v53, v52, s2 dst_sel:DWORD dst_unused:UNUSED_PAD src0_sel:BYTE_0 src1_sel:DWORD
	v_lshrrev_b16_e32 v53, 11, v53
	v_mul_lo_u16_e32 v55, 10, v53
	v_sub_u16_e32 v55, v52, v55
	v_mov_b32_e32 v58, 5
	v_lshlrev_b32_sdwa v58, v58, v55 dst_sel:DWORD dst_unused:UNUSED_PAD src0_sel:DWORD src1_sel:BYTE_0
	global_load_dwordx4 v[64:67], v58, s[12:13] offset:16
	global_load_dwordx4 v[68:71], v58, s[12:13]
	s_mov_b32 s2, 0xcccd
	s_mov_b32 s5, 0xbfebb67a
	s_waitcnt vmcnt(0) lgkmcnt(7)
	v_mul_f64 v[58:59], v[42:43], v[70:71]
	v_fma_f64 v[58:59], v[40:41], v[68:69], -v[58:59]
	v_mul_f64 v[40:41], v[40:41], v[70:71]
	v_fma_f64 v[68:69], v[42:43], v[68:69], v[40:41]
	s_waitcnt lgkmcnt(6)
	v_mul_f64 v[40:41], v[46:47], v[66:67]
	v_fma_f64 v[70:71], v[44:45], v[64:65], -v[40:41]
	v_mul_f64 v[40:41], v[44:45], v[66:67]
	v_fma_f64 v[64:65], v[46:47], v[64:65], v[40:41]
	v_mul_u32_u24_sdwa v40, v54, s2 dst_sel:DWORD dst_unused:UNUSED_PAD src0_sel:WORD_0 src1_sel:DWORD
	v_lshrrev_b32_e32 v88, 19, v40
	v_mul_lo_u16_e32 v40, 10, v88
	v_sub_u16_e32 v89, v54, v40
	v_lshlrev_b32_e32 v66, 5, v89
	global_load_dwordx4 v[40:43], v66, s[12:13] offset:16
	global_load_dwordx4 v[44:47], v66, s[12:13]
	s_waitcnt vmcnt(0) lgkmcnt(3)
	v_mul_f64 v[66:67], v[38:39], v[46:47]
	v_fma_f64 v[66:67], v[36:37], v[44:45], -v[66:67]
	v_mul_f64 v[36:37], v[36:37], v[46:47]
	v_fma_f64 v[44:45], v[38:39], v[44:45], v[36:37]
	v_mul_f64 v[36:37], v[34:35], v[42:43]
	v_fma_f64 v[46:47], v[32:33], v[40:41], -v[36:37]
	v_mul_f64 v[32:33], v[32:33], v[42:43]
	v_fma_f64 v[40:41], v[34:35], v[40:41], v[32:33]
	v_mul_u32_u24_sdwa v32, v57, s2 dst_sel:DWORD dst_unused:UNUSED_PAD src0_sel:WORD_0 src1_sel:DWORD
	v_lshrrev_b32_e32 v90, 19, v32
	v_mul_lo_u16_e32 v32, 10, v90
	v_sub_u16_e32 v91, v57, v32
	v_lshlrev_b32_e32 v42, 5, v91
	global_load_dwordx4 v[32:35], v42, s[12:13] offset:16
	global_load_dwordx4 v[36:39], v42, s[12:13]
	s_waitcnt vmcnt(0) lgkmcnt(2)
	v_mul_f64 v[42:43], v[30:31], v[38:39]
	v_fma_f64 v[72:73], v[28:29], v[36:37], -v[42:43]
	v_mul_f64 v[28:29], v[28:29], v[38:39]
	v_fma_f64 v[74:75], v[30:31], v[36:37], v[28:29]
	s_waitcnt lgkmcnt(0)
	v_mul_f64 v[28:29], v[26:27], v[34:35]
	v_fma_f64 v[76:77], v[24:25], v[32:33], -v[28:29]
	v_mul_f64 v[24:25], v[24:25], v[34:35]
	v_fma_f64 v[78:79], v[26:27], v[32:33], v[24:25]
	v_mul_u32_u24_sdwa v24, v56, s2 dst_sel:DWORD dst_unused:UNUSED_PAD src0_sel:WORD_0 src1_sel:DWORD
	v_lshrrev_b32_e32 v24, 19, v24
	v_mul_lo_u16_e32 v25, 10, v24
	v_sub_u16_e32 v25, v56, v25
	v_lshlrev_b32_e32 v34, 5, v25
	global_load_dwordx4 v[26:29], v34, s[12:13] offset:16
	global_load_dwordx4 v[30:33], v34, s[12:13]
	s_mov_b32 s2, 0xe8584caa
	s_mov_b32 s3, 0x3febb67a
	s_mov_b32 s4, s2
	s_waitcnt vmcnt(0)
	s_barrier
	v_mul_f64 v[34:35], v[18:19], v[32:33]
	v_fma_f64 v[80:81], v[16:17], v[30:31], -v[34:35]
	v_mul_f64 v[16:17], v[16:17], v[32:33]
	v_fma_f64 v[82:83], v[18:19], v[30:31], v[16:17]
	v_mul_f64 v[16:17], v[22:23], v[28:29]
	v_add_f64 v[18:19], v[58:59], v[70:71]
	v_fma_f64 v[84:85], v[20:21], v[26:27], -v[16:17]
	v_mul_f64 v[16:17], v[20:21], v[28:29]
	v_fma_f64 v[86:87], v[22:23], v[26:27], v[16:17]
	v_add_f64 v[16:17], v[12:13], v[58:59]
	v_fma_f64 v[12:13], v[18:19], -0.5, v[12:13]
	v_add_f64 v[18:19], v[68:69], -v[64:65]
	v_add_f64 v[16:17], v[16:17], v[70:71]
	v_fma_f64 v[20:21], v[18:19], s[2:3], v[12:13]
	v_fma_f64 v[26:27], v[18:19], s[4:5], v[12:13]
	v_add_f64 v[12:13], v[14:15], v[68:69]
	v_add_f64 v[18:19], v[12:13], v[64:65]
	;; [unrolled: 1-line block ×3, first 2 shown]
	v_fma_f64 v[12:13], v[12:13], -0.5, v[14:15]
	v_add_f64 v[14:15], v[58:59], -v[70:71]
	v_fma_f64 v[22:23], v[14:15], s[4:5], v[12:13]
	v_fma_f64 v[28:29], v[14:15], s[2:3], v[12:13]
	v_add_f64 v[12:13], v[8:9], v[66:67]
	v_add_f64 v[14:15], v[44:45], -v[40:41]
	v_add_f64 v[30:31], v[12:13], v[46:47]
	v_add_f64 v[12:13], v[66:67], v[46:47]
	v_fma_f64 v[12:13], v[12:13], -0.5, v[8:9]
	v_fma_f64 v[8:9], v[14:15], s[2:3], v[12:13]
	v_fma_f64 v[34:35], v[14:15], s[4:5], v[12:13]
	v_add_f64 v[12:13], v[10:11], v[44:45]
	v_add_f64 v[14:15], v[66:67], -v[46:47]
	v_add_f64 v[46:47], v[80:81], -v[84:85]
	v_add_f64 v[32:33], v[12:13], v[40:41]
	v_add_f64 v[12:13], v[44:45], v[40:41]
	v_fma_f64 v[12:13], v[12:13], -0.5, v[10:11]
	v_fma_f64 v[10:11], v[14:15], s[4:5], v[12:13]
	v_fma_f64 v[36:37], v[14:15], s[2:3], v[12:13]
	v_add_f64 v[12:13], v[4:5], v[72:73]
	v_add_f64 v[14:15], v[82:83], v[86:87]
	;; [unrolled: 1-line block ×4, first 2 shown]
	v_fma_f64 v[14:15], v[14:15], -0.5, v[2:3]
	v_fma_f64 v[4:5], v[12:13], -0.5, v[4:5]
	v_add_f64 v[12:13], v[74:75], -v[78:79]
	v_fma_f64 v[42:43], v[12:13], s[2:3], v[4:5]
	v_fma_f64 v[64:65], v[12:13], s[4:5], v[4:5]
	v_add_f64 v[4:5], v[6:7], v[74:75]
	v_add_f64 v[12:13], v[82:83], -v[86:87]
	v_add_f64 v[40:41], v[4:5], v[78:79]
	v_add_f64 v[4:5], v[74:75], v[78:79]
	v_fma_f64 v[4:5], v[4:5], -0.5, v[6:7]
	v_add_f64 v[6:7], v[72:73], -v[76:77]
	v_fma_f64 v[44:45], v[6:7], s[4:5], v[4:5]
	v_fma_f64 v[66:67], v[6:7], s[2:3], v[4:5]
	v_add_f64 v[6:7], v[80:81], v[84:85]
	v_add_f64 v[4:5], v[0:1], v[80:81]
	v_fma_f64 v[6:7], v[6:7], -0.5, v[0:1]
	v_add_f64 v[4:5], v[4:5], v[84:85]
	v_fma_f64 v[0:1], v[12:13], s[2:3], v[6:7]
	v_fma_f64 v[12:13], v[12:13], s[4:5], v[6:7]
	v_add_f64 v[6:7], v[2:3], v[82:83]
	v_fma_f64 v[2:3], v[46:47], s[4:5], v[14:15]
	v_fma_f64 v[14:15], v[46:47], s[2:3], v[14:15]
	v_mov_b32_e32 v47, 4
	v_mul_u32_u24_e32 v46, 0x1e0, v53
	v_lshlrev_b32_sdwa v47, v47, v55 dst_sel:DWORD dst_unused:UNUSED_PAD src0_sel:DWORD src1_sel:BYTE_0
	v_add3_u32 v46, 0, v46, v47
	ds_write_b128 v46, v[16:19]
	ds_write_b128 v46, v[20:23] offset:160
	ds_write_b128 v46, v[26:29] offset:320
	v_add_f64 v[6:7], v[6:7], v[86:87]
	v_mul_u32_u24_e32 v16, 0x1e0, v88
	v_lshlrev_b32_e32 v17, 4, v89
	v_add3_u32 v16, 0, v16, v17
	ds_write_b128 v16, v[30:33]
	ds_write_b128 v16, v[8:11] offset:160
	ds_write_b128 v16, v[34:37] offset:320
	v_mul_u32_u24_e32 v8, 0x1e0, v90
	v_lshlrev_b32_e32 v9, 4, v91
	v_add3_u32 v8, 0, v8, v9
	ds_write_b128 v8, v[38:41]
	ds_write_b128 v8, v[42:45] offset:160
	ds_write_b128 v8, v[64:67] offset:320
	s_and_saveexec_b64 s[2:3], vcc
	s_cbranch_execz .LBB0_17
; %bb.16:
	v_mul_lo_u16_e32 v8, 30, v24
	v_lshlrev_b32_e32 v9, 4, v25
	v_lshlrev_b32_e32 v8, 4, v8
	v_add3_u32 v8, 0, v9, v8
	ds_write_b128 v8, v[4:7]
	ds_write_b128 v8, v[0:3] offset:160
	ds_write_b128 v8, v[12:15] offset:320
.LBB0_17:
	s_or_b64 exec, exec, s[2:3]
	s_waitcnt lgkmcnt(0)
	s_barrier
	ds_read_b128 v[20:23], v60
	ds_read_b128 v[44:47], v60 offset:8640
	ds_read_b128 v[40:43], v60 offset:17280
	;; [unrolled: 1-line block ×3, first 2 shown]
	ds_read_b128 v[8:11], v62
	ds_read_b128 v[36:39], v60 offset:11232
	ds_read_b128 v[28:31], v60 offset:13824
	ds_read_b128 v[16:19], v63
	ds_read_b128 v[24:27], v60 offset:22464
	s_and_saveexec_b64 s[2:3], vcc
	s_cbranch_execz .LBB0_19
; %bb.18:
	ds_read_b128 v[4:7], v61
	ds_read_b128 v[0:3], v60 offset:16416
	ds_read_b128 v[12:15], v60 offset:25056
.LBB0_19:
	s_or_b64 exec, exec, s[2:3]
	s_movk_i32 s2, 0x89
	v_mul_lo_u16_sdwa v53, v52, s2 dst_sel:DWORD dst_unused:UNUSED_PAD src0_sel:BYTE_0 src1_sel:DWORD
	v_lshrrev_b16_e32 v53, 12, v53
	v_mul_lo_u16_e32 v55, 30, v53
	v_sub_u16_e32 v55, v52, v55
	v_mov_b32_e32 v58, 5
	v_lshlrev_b32_sdwa v58, v58, v55 dst_sel:DWORD dst_unused:UNUSED_PAD src0_sel:DWORD src1_sel:BYTE_0
	global_load_dwordx4 v[64:67], v58, s[12:13] offset:336
	global_load_dwordx4 v[68:71], v58, s[12:13] offset:320
	s_mov_b32 s2, 0x8889
	s_waitcnt vmcnt(0) lgkmcnt(7)
	v_mul_f64 v[58:59], v[46:47], v[70:71]
	v_fma_f64 v[58:59], v[44:45], v[68:69], -v[58:59]
	v_mul_f64 v[44:45], v[44:45], v[70:71]
	v_fma_f64 v[68:69], v[46:47], v[68:69], v[44:45]
	s_waitcnt lgkmcnt(6)
	v_mul_f64 v[44:45], v[42:43], v[66:67]
	v_fma_f64 v[70:71], v[40:41], v[64:65], -v[44:45]
	v_mul_f64 v[40:41], v[40:41], v[66:67]
	v_fma_f64 v[64:65], v[42:43], v[64:65], v[40:41]
	v_mul_u32_u24_sdwa v40, v54, s2 dst_sel:DWORD dst_unused:UNUSED_PAD src0_sel:WORD_0 src1_sel:DWORD
	v_lshrrev_b32_e32 v90, 20, v40
	v_mul_lo_u16_e32 v40, 30, v90
	v_sub_u16_e32 v91, v54, v40
	v_lshlrev_b32_e32 v66, 5, v91
	global_load_dwordx4 v[40:43], v66, s[12:13] offset:336
	global_load_dwordx4 v[44:47], v66, s[12:13] offset:320
	s_waitcnt vmcnt(0) lgkmcnt(3)
	v_mul_f64 v[66:67], v[38:39], v[46:47]
	v_fma_f64 v[66:67], v[36:37], v[44:45], -v[66:67]
	v_mul_f64 v[36:37], v[36:37], v[46:47]
	v_fma_f64 v[46:47], v[38:39], v[44:45], v[36:37]
	v_mul_f64 v[36:37], v[34:35], v[42:43]
	v_fma_f64 v[72:73], v[32:33], v[40:41], -v[36:37]
	v_mul_f64 v[32:33], v[32:33], v[42:43]
	v_fma_f64 v[74:75], v[34:35], v[40:41], v[32:33]
	v_mul_u32_u24_sdwa v32, v57, s2 dst_sel:DWORD dst_unused:UNUSED_PAD src0_sel:WORD_0 src1_sel:DWORD
	v_lshrrev_b32_e32 v92, 20, v32
	v_mul_lo_u16_e32 v32, 30, v92
	v_sub_u16_e32 v93, v57, v32
	v_lshlrev_b32_e32 v40, 5, v93
	global_load_dwordx4 v[32:35], v40, s[12:13] offset:336
	global_load_dwordx4 v[36:39], v40, s[12:13] offset:320
	s_waitcnt vmcnt(0) lgkmcnt(2)
	v_mul_f64 v[40:41], v[30:31], v[38:39]
	v_fma_f64 v[76:77], v[28:29], v[36:37], -v[40:41]
	v_mul_f64 v[28:29], v[28:29], v[38:39]
	v_fma_f64 v[78:79], v[30:31], v[36:37], v[28:29]
	s_waitcnt lgkmcnt(0)
	v_mul_f64 v[28:29], v[26:27], v[34:35]
	v_fma_f64 v[80:81], v[24:25], v[32:33], -v[28:29]
	v_mul_f64 v[24:25], v[24:25], v[34:35]
	v_fma_f64 v[82:83], v[26:27], v[32:33], v[24:25]
	v_mul_u32_u24_sdwa v24, v56, s2 dst_sel:DWORD dst_unused:UNUSED_PAD src0_sel:WORD_0 src1_sel:DWORD
	v_lshrrev_b32_e32 v28, 20, v24
	v_mul_lo_u16_e32 v24, 30, v28
	v_sub_u16_e32 v29, v56, v24
	v_lshlrev_b32_e32 v34, 5, v29
	global_load_dwordx4 v[24:27], v34, s[12:13] offset:336
	global_load_dwordx4 v[30:33], v34, s[12:13] offset:320
	s_mov_b32 s2, 0xe8584caa
	s_mov_b32 s3, 0x3febb67a
	;; [unrolled: 1-line block ×3, first 2 shown]
	s_waitcnt vmcnt(0)
	s_barrier
	v_mul_f64 v[34:35], v[2:3], v[32:33]
	v_fma_f64 v[84:85], v[0:1], v[30:31], -v[34:35]
	v_mul_f64 v[0:1], v[0:1], v[32:33]
	v_fma_f64 v[86:87], v[2:3], v[30:31], v[0:1]
	v_mul_f64 v[0:1], v[14:15], v[26:27]
	v_add_f64 v[2:3], v[68:69], -v[64:65]
	v_fma_f64 v[88:89], v[12:13], v[24:25], -v[0:1]
	v_mul_f64 v[0:1], v[12:13], v[26:27]
	v_fma_f64 v[26:27], v[14:15], v[24:25], v[0:1]
	v_add_f64 v[0:1], v[20:21], v[58:59]
	v_add_f64 v[30:31], v[0:1], v[70:71]
	;; [unrolled: 1-line block ×3, first 2 shown]
	v_fma_f64 v[0:1], v[0:1], -0.5, v[20:21]
	v_fma_f64 v[34:35], v[2:3], s[2:3], v[0:1]
	v_fma_f64 v[38:39], v[2:3], s[4:5], v[0:1]
	v_add_f64 v[0:1], v[22:23], v[68:69]
	v_add_f64 v[2:3], v[58:59], -v[70:71]
	v_add_f64 v[32:33], v[0:1], v[64:65]
	v_add_f64 v[0:1], v[68:69], v[64:65]
	v_fma_f64 v[0:1], v[0:1], -0.5, v[22:23]
	v_fma_f64 v[36:37], v[2:3], s[4:5], v[0:1]
	v_fma_f64 v[40:41], v[2:3], s[2:3], v[0:1]
	v_add_f64 v[0:1], v[16:17], v[66:67]
	v_add_f64 v[2:3], v[46:47], -v[74:75]
	v_add_f64 v[42:43], v[0:1], v[72:73]
	v_add_f64 v[0:1], v[66:67], v[72:73]
	;; [unrolled: 7-line block ×3, first 2 shown]
	v_fma_f64 v[0:1], v[0:1], -0.5, v[18:19]
	v_fma_f64 v[66:67], v[2:3], s[4:5], v[0:1]
	v_fma_f64 v[70:71], v[2:3], s[2:3], v[0:1]
	v_add_f64 v[2:3], v[76:77], v[80:81]
	v_add_f64 v[0:1], v[8:9], v[76:77]
	v_fma_f64 v[2:3], v[2:3], -0.5, v[8:9]
	v_add_f64 v[8:9], v[78:79], -v[82:83]
	v_add_f64 v[0:1], v[0:1], v[80:81]
	v_fma_f64 v[12:13], v[8:9], s[2:3], v[2:3]
	v_fma_f64 v[16:17], v[8:9], s[4:5], v[2:3]
	v_add_f64 v[8:9], v[78:79], v[82:83]
	v_add_f64 v[2:3], v[10:11], v[78:79]
	v_fma_f64 v[8:9], v[8:9], -0.5, v[10:11]
	v_add_f64 v[10:11], v[76:77], -v[80:81]
	v_add_f64 v[2:3], v[2:3], v[82:83]
	v_fma_f64 v[14:15], v[10:11], s[4:5], v[8:9]
	v_fma_f64 v[18:19], v[10:11], s[2:3], v[8:9]
	v_add_f64 v[8:9], v[4:5], v[84:85]
	v_add_f64 v[20:21], v[8:9], v[88:89]
	;; [unrolled: 1-line block ×3, first 2 shown]
	v_fma_f64 v[4:5], v[8:9], -0.5, v[4:5]
	v_add_f64 v[8:9], v[86:87], -v[26:27]
	v_fma_f64 v[24:25], v[8:9], s[2:3], v[4:5]
	v_fma_f64 v[4:5], v[8:9], s[4:5], v[4:5]
	v_add_f64 v[8:9], v[6:7], v[86:87]
	v_add_f64 v[22:23], v[8:9], v[26:27]
	;; [unrolled: 1-line block ×3, first 2 shown]
	v_fma_f64 v[6:7], v[8:9], -0.5, v[6:7]
	v_add_f64 v[8:9], v[84:85], -v[88:89]
	v_fma_f64 v[26:27], v[8:9], s[4:5], v[6:7]
	v_fma_f64 v[6:7], v[8:9], s[2:3], v[6:7]
	v_mov_b32_e32 v9, 4
	v_mul_u32_u24_e32 v8, 0x5a0, v53
	v_lshlrev_b32_sdwa v9, v9, v55 dst_sel:DWORD dst_unused:UNUSED_PAD src0_sel:DWORD src1_sel:BYTE_0
	v_add3_u32 v8, 0, v8, v9
	ds_write_b128 v8, v[30:33]
	ds_write_b128 v8, v[34:37] offset:480
	ds_write_b128 v8, v[38:41] offset:960
	v_mul_u32_u24_e32 v8, 0x5a0, v90
	v_lshlrev_b32_e32 v9, 4, v91
	v_add3_u32 v8, 0, v8, v9
	ds_write_b128 v8, v[42:45]
	ds_write_b128 v8, v[64:67] offset:480
	ds_write_b128 v8, v[68:71] offset:960
	v_mul_u32_u24_e32 v8, 0x5a0, v92
	v_lshlrev_b32_e32 v9, 4, v93
	v_add3_u32 v8, 0, v8, v9
	ds_write_b128 v8, v[0:3]
	ds_write_b128 v8, v[12:15] offset:480
	ds_write_b128 v8, v[16:19] offset:960
	s_and_saveexec_b64 s[2:3], vcc
	s_cbranch_execz .LBB0_21
; %bb.20:
	v_mul_lo_u16_e32 v8, 0x5a, v28
	v_lshlrev_b32_e32 v9, 4, v29
	v_lshlrev_b32_e32 v8, 4, v8
	v_add3_u32 v8, 0, v9, v8
	ds_write_b128 v8, v[20:23]
	ds_write_b128 v8, v[24:27] offset:480
	ds_write_b128 v8, v[4:7] offset:960
.LBB0_21:
	s_or_b64 exec, exec, s[2:3]
	s_waitcnt lgkmcnt(0)
	s_barrier
	ds_read_b128 v[8:11], v60
	ds_read_b128 v[44:47], v60 offset:4320
	ds_read_b128 v[40:43], v60 offset:8640
	;; [unrolled: 1-line block ×5, first 2 shown]
	s_movk_i32 s2, 0x6c
	v_cmp_gt_u32_e64 s[2:3], s2, v52
	s_and_saveexec_b64 s[4:5], s[2:3]
	s_cbranch_execz .LBB0_23
; %bb.22:
	ds_read_b128 v[12:15], v60 offset:6912
	ds_read_b128 v[16:19], v60 offset:11232
	;; [unrolled: 1-line block ×4, first 2 shown]
	ds_read_b128 v[0:3], v63
	ds_read_b128 v[4:7], v60 offset:24192
.LBB0_23:
	s_or_b64 exec, exec, s[4:5]
	s_movk_i32 s4, 0x5a
	v_add_u32_e32 v53, 0xffffffa6, v52
	v_cmp_gt_u32_e64 s[4:5], s4, v52
	v_cndmask_b32_e64 v53, v53, v52, s[4:5]
	v_mul_i32_i24_e32 v58, 5, v53
	v_mov_b32_e32 v59, 0
	v_lshlrev_b64 v[58:59], 4, v[58:59]
	v_mov_b32_e32 v55, s13
	v_add_co_u32_e64 v58, s[4:5], s12, v58
	v_addc_co_u32_e64 v59, s[4:5], v55, v59, s[4:5]
	global_load_dwordx4 v[64:67], v[58:59], off offset:1328
	global_load_dwordx4 v[68:71], v[58:59], off offset:1312
	;; [unrolled: 1-line block ×4, first 2 shown]
	s_movk_i32 s4, 0x2d83
	s_mov_b32 s9, 0xbfebb67a
	s_waitcnt vmcnt(0) lgkmcnt(4)
	v_mul_f64 v[80:81], v[46:47], v[78:79]
	v_fma_f64 v[80:81], v[44:45], v[76:77], -v[80:81]
	v_mul_f64 v[44:45], v[44:45], v[78:79]
	v_fma_f64 v[46:47], v[46:47], v[76:77], v[44:45]
	s_waitcnt lgkmcnt(3)
	v_mul_f64 v[44:45], v[42:43], v[74:75]
	v_fma_f64 v[76:77], v[40:41], v[72:73], -v[44:45]
	v_mul_f64 v[40:41], v[40:41], v[74:75]
	v_fma_f64 v[72:73], v[42:43], v[72:73], v[40:41]
	s_waitcnt lgkmcnt(2)
	;; [unrolled: 5-line block ×3, first 2 shown]
	v_mul_f64 v[36:37], v[34:35], v[66:67]
	v_fma_f64 v[70:71], v[32:33], v[64:65], -v[36:37]
	v_mul_f64 v[32:33], v[32:33], v[66:67]
	v_fma_f64 v[64:65], v[34:35], v[64:65], v[32:33]
	global_load_dwordx4 v[32:35], v[58:59], off offset:1344
	s_waitcnt vmcnt(0) lgkmcnt(0)
	v_mul_f64 v[36:37], v[30:31], v[34:35]
	v_fma_f64 v[58:59], v[28:29], v[32:33], -v[36:37]
	v_mul_f64 v[28:29], v[28:29], v[34:35]
	v_fma_f64 v[66:67], v[30:31], v[32:33], v[28:29]
	v_mul_u32_u24_sdwa v28, v54, s4 dst_sel:DWORD dst_unused:UNUSED_PAD src0_sel:WORD_0 src1_sel:DWORD
	v_lshrrev_b32_e32 v36, 20, v28
	v_mul_lo_u16_e32 v28, 0x5a, v36
	v_sub_u16_e32 v37, v54, v28
	v_mul_u32_u24_e32 v28, 5, v37
	v_lshlrev_b32_e32 v55, 4, v28
	global_load_dwordx4 v[28:31], v55, s[12:13] offset:1328
	global_load_dwordx4 v[32:35], v55, s[12:13] offset:1312
	;; [unrolled: 1-line block ×4, first 2 shown]
	s_mov_b32 s4, 0xe8584caa
	s_mov_b32 s5, 0x3febb67a
	;; [unrolled: 1-line block ×3, first 2 shown]
	s_waitcnt vmcnt(0)
	v_mul_f64 v[78:79], v[14:15], v[44:45]
	v_fma_f64 v[82:83], v[12:13], v[42:43], -v[78:79]
	v_mul_f64 v[12:13], v[12:13], v[44:45]
	v_fma_f64 v[84:85], v[14:15], v[42:43], v[12:13]
	v_mul_f64 v[12:13], v[18:19], v[40:41]
	v_fma_f64 v[86:87], v[16:17], v[38:39], -v[12:13]
	v_mul_f64 v[12:13], v[16:17], v[40:41]
	v_fma_f64 v[88:89], v[18:19], v[38:39], v[12:13]
	v_mul_f64 v[12:13], v[22:23], v[34:35]
	v_add_f64 v[38:39], v[74:75], -v[58:59]
	v_fma_f64 v[90:91], v[20:21], v[32:33], -v[12:13]
	v_mul_f64 v[12:13], v[20:21], v[34:35]
	v_add_f64 v[34:35], v[68:69], v[66:67]
	v_fma_f64 v[32:33], v[22:23], v[32:33], v[12:13]
	v_mul_f64 v[12:13], v[26:27], v[30:31]
	v_fma_f64 v[34:35], v[34:35], -0.5, v[46:47]
	v_fma_f64 v[20:21], v[24:25], v[28:29], -v[12:13]
	v_mul_f64 v[12:13], v[24:25], v[30:31]
	v_add_f64 v[24:25], v[74:75], v[58:59]
	v_fma_f64 v[44:45], v[38:39], s[8:9], v[34:35]
	v_fma_f64 v[34:35], v[38:39], s[4:5], v[34:35]
	;; [unrolled: 1-line block ×3, first 2 shown]
	global_load_dwordx4 v[12:15], v55, s[12:13] offset:1344
	v_fma_f64 v[24:25], v[24:25], -0.5, v[80:81]
	v_add_f64 v[26:27], v[68:69], -v[66:67]
	v_mul_f64 v[40:41], v[44:45], s[4:5]
	s_waitcnt vmcnt(0)
	s_barrier
	v_fma_f64 v[30:31], v[26:27], s[4:5], v[24:25]
	v_fma_f64 v[24:25], v[26:27], s[8:9], v[24:25]
	v_add_f64 v[26:27], v[46:47], v[68:69]
	v_fma_f64 v[46:47], v[30:31], 0.5, v[40:41]
	v_mul_f64 v[40:41], v[24:25], -0.5
	v_add_f64 v[26:27], v[26:27], v[66:67]
	v_mul_f64 v[30:31], v[30:31], s[8:9]
	v_fma_f64 v[30:31], v[44:45], 0.5, v[30:31]
	v_mul_f64 v[16:17], v[6:7], v[14:15]
	v_fma_f64 v[28:29], v[4:5], v[12:13], -v[16:17]
	v_mul_f64 v[4:5], v[4:5], v[14:15]
	v_add_f64 v[16:17], v[72:73], v[64:65]
	v_fma_f64 v[4:5], v[6:7], v[12:13], v[4:5]
	v_add_f64 v[12:13], v[76:77], v[70:71]
	v_add_f64 v[6:7], v[8:9], v[76:77]
	v_fma_f64 v[8:9], v[12:13], -0.5, v[8:9]
	v_add_f64 v[12:13], v[72:73], -v[64:65]
	v_add_f64 v[6:7], v[6:7], v[70:71]
	v_fma_f64 v[14:15], v[12:13], s[4:5], v[8:9]
	v_fma_f64 v[8:9], v[12:13], s[8:9], v[8:9]
	v_add_f64 v[12:13], v[10:11], v[72:73]
	v_fma_f64 v[10:11], v[16:17], -0.5, v[10:11]
	v_add_f64 v[16:17], v[76:77], -v[70:71]
	v_add_f64 v[42:43], v[14:15], v[46:47]
	v_add_f64 v[72:73], v[14:15], -v[46:47]
	v_add_f64 v[12:13], v[12:13], v[64:65]
	v_mov_b32_e32 v46, 0x21c0
	v_fma_f64 v[18:19], v[16:17], s[8:9], v[10:11]
	v_fma_f64 v[10:11], v[16:17], s[4:5], v[10:11]
	v_add_f64 v[16:17], v[80:81], v[74:75]
	v_lshlrev_b32_e32 v47, 4, v53
	v_add_f64 v[70:71], v[12:13], -v[26:27]
	v_add_f64 v[44:45], v[18:19], v[30:31]
	v_add_f64 v[74:75], v[18:19], -v[30:31]
	v_add_f64 v[16:17], v[16:17], v[58:59]
	v_fma_f64 v[58:59], v[34:35], s[4:5], v[40:41]
	v_add_f64 v[40:41], v[12:13], v[26:27]
	v_mul_f64 v[34:35], v[34:35], -0.5
	v_add_f64 v[38:39], v[6:7], v[16:17]
	v_add_f64 v[68:69], v[6:7], -v[16:17]
	v_add_f64 v[6:7], v[0:1], v[86:87]
	v_fma_f64 v[24:25], v[24:25], s[8:9], v[34:35]
	v_add_f64 v[64:65], v[8:9], v[58:59]
	v_add_f64 v[76:77], v[8:9], -v[58:59]
	v_add_f64 v[12:13], v[6:7], v[20:21]
	v_add_f64 v[6:7], v[86:87], v[20:21]
	v_add_f64 v[66:67], v[10:11], v[24:25]
	v_add_f64 v[78:79], v[10:11], -v[24:25]
	v_fma_f64 v[0:1], v[6:7], -0.5, v[0:1]
	v_add_f64 v[6:7], v[88:89], -v[22:23]
	v_fma_f64 v[14:15], v[6:7], s[4:5], v[0:1]
	v_fma_f64 v[16:17], v[6:7], s[8:9], v[0:1]
	v_add_f64 v[0:1], v[2:3], v[88:89]
	v_add_f64 v[18:19], v[0:1], v[22:23]
	;; [unrolled: 1-line block ×3, first 2 shown]
	v_fma_f64 v[0:1], v[0:1], -0.5, v[2:3]
	v_add_f64 v[2:3], v[86:87], -v[20:21]
	v_fma_f64 v[22:23], v[2:3], s[8:9], v[0:1]
	v_fma_f64 v[24:25], v[2:3], s[4:5], v[0:1]
	v_add_f64 v[0:1], v[82:83], v[90:91]
	v_add_f64 v[2:3], v[32:33], -v[4:5]
	v_add_f64 v[20:21], v[0:1], v[28:29]
	v_add_f64 v[0:1], v[90:91], v[28:29]
	v_fma_f64 v[0:1], v[0:1], -0.5, v[82:83]
	v_fma_f64 v[6:7], v[2:3], s[4:5], v[0:1]
	v_fma_f64 v[0:1], v[2:3], s[8:9], v[0:1]
	v_add_f64 v[2:3], v[84:85], v[32:33]
	v_add_f64 v[26:27], v[2:3], v[4:5]
	v_add_f64 v[2:3], v[32:33], v[4:5]
	v_add_f64 v[4:5], v[90:91], -v[28:29]
	v_fma_f64 v[2:3], v[2:3], -0.5, v[84:85]
	v_fma_f64 v[8:9], v[4:5], s[8:9], v[2:3]
	v_fma_f64 v[2:3], v[4:5], s[4:5], v[2:3]
	v_mul_f64 v[4:5], v[8:9], s[4:5]
	v_fma_f64 v[28:29], v[6:7], 0.5, v[4:5]
	v_mul_f64 v[4:5], v[0:1], -0.5
	v_fma_f64 v[30:31], v[2:3], s[4:5], v[4:5]
	v_mul_f64 v[4:5], v[6:7], s[8:9]
	v_mul_f64 v[2:3], v[2:3], -0.5
	s_movk_i32 s4, 0x59
	v_cmp_lt_u32_e64 s[4:5], s4, v52
	v_cndmask_b32_e64 v46, 0, v46, s[4:5]
	v_add3_u32 v46, 0, v46, v47
	ds_write_b128 v46, v[38:41]
	ds_write_b128 v46, v[42:45] offset:1440
	ds_write_b128 v46, v[64:67] offset:2880
	;; [unrolled: 1-line block ×5, first 2 shown]
	v_fma_f64 v[32:33], v[8:9], 0.5, v[4:5]
	v_fma_f64 v[34:35], v[0:1], s[8:9], v[2:3]
	v_add_f64 v[0:1], v[12:13], -v[20:21]
	v_add_f64 v[4:5], v[14:15], -v[28:29]
	;; [unrolled: 1-line block ×6, first 2 shown]
	s_and_saveexec_b64 s[4:5], s[2:3]
	s_cbranch_execz .LBB0_25
; %bb.24:
	v_add_f64 v[40:41], v[18:19], v[26:27]
	v_add_f64 v[38:39], v[12:13], v[20:21]
	;; [unrolled: 1-line block ×6, first 2 shown]
	v_mul_lo_u16_e32 v12, 0x21c, v36
	v_lshlrev_b32_e32 v13, 4, v37
	v_lshlrev_b32_e32 v12, 4, v12
	v_add3_u32 v12, 0, v13, v12
	ds_write_b128 v12, v[38:41]
	ds_write_b128 v12, v[32:35] offset:1440
	ds_write_b128 v12, v[22:25] offset:2880
	;; [unrolled: 1-line block ×5, first 2 shown]
.LBB0_25:
	s_or_b64 exec, exec, s[4:5]
	s_waitcnt lgkmcnt(0)
	s_barrier
	ds_read_b128 v[20:23], v60
	ds_read_b128 v[44:47], v60 offset:8640
	ds_read_b128 v[40:43], v60 offset:17280
	;; [unrolled: 1-line block ×3, first 2 shown]
	ds_read_b128 v[12:15], v62
	ds_read_b128 v[36:39], v60 offset:11232
	ds_read_b128 v[28:31], v60 offset:13824
	ds_read_b128 v[16:19], v63
	ds_read_b128 v[24:27], v60 offset:22464
	s_and_saveexec_b64 s[2:3], vcc
	s_cbranch_execz .LBB0_27
; %bb.26:
	ds_read_b128 v[0:3], v61
	ds_read_b128 v[4:7], v60 offset:16416
	ds_read_b128 v[8:11], v60 offset:25056
.LBB0_27:
	s_or_b64 exec, exec, s[2:3]
	v_lshlrev_b32_e32 v58, 1, v52
	v_mov_b32_e32 v59, 0
	v_lshlrev_b64 v[64:65], 4, v[58:59]
	v_mov_b32_e32 v55, s13
	v_add_co_u32_e64 v53, s[2:3], s12, v64
	v_addc_co_u32_e64 v58, s[2:3], v55, v65, s[2:3]
	s_movk_i32 s4, 0x2120
	v_add_co_u32_e64 v72, s[2:3], s4, v53
	v_addc_co_u32_e64 v73, s[2:3], 0, v58, s[2:3]
	s_movk_i32 s14, 0x2000
	v_add_co_u32_e64 v74, s[2:3], s14, v53
	v_addc_co_u32_e64 v75, s[2:3], 0, v58, s[2:3]
	global_load_dwordx4 v[64:67], v[74:75], off offset:288
	global_load_dwordx4 v[68:71], v[72:73], off offset:16
	v_lshlrev_b32_e32 v58, 1, v54
	s_mov_b32 s5, 0xbfebb67a
	s_waitcnt vmcnt(1) lgkmcnt(7)
	v_mul_f64 v[72:73], v[46:47], v[66:67]
	v_fma_f64 v[72:73], v[44:45], v[64:65], -v[72:73]
	v_mul_f64 v[44:45], v[44:45], v[66:67]
	v_fma_f64 v[64:65], v[46:47], v[64:65], v[44:45]
	s_waitcnt vmcnt(0) lgkmcnt(6)
	v_mul_f64 v[44:45], v[42:43], v[70:71]
	v_fma_f64 v[66:67], v[40:41], v[68:69], -v[44:45]
	v_mul_f64 v[40:41], v[40:41], v[70:71]
	v_fma_f64 v[68:69], v[42:43], v[68:69], v[40:41]
	v_lshlrev_b64 v[40:41], 4, v[58:59]
	v_lshlrev_b32_e32 v58, 1, v57
	v_add_co_u32_e64 v40, s[2:3], s12, v40
	v_addc_co_u32_e64 v41, s[2:3], v55, v41, s[2:3]
	v_add_co_u32_e64 v70, s[2:3], s4, v40
	v_addc_co_u32_e64 v71, s[2:3], 0, v41, s[2:3]
	;; [unrolled: 2-line block ×3, first 2 shown]
	global_load_dwordx4 v[40:43], v[74:75], off offset:288
	global_load_dwordx4 v[44:47], v[70:71], off offset:16
	s_waitcnt vmcnt(1) lgkmcnt(3)
	v_mul_f64 v[70:71], v[38:39], v[42:43]
	v_fma_f64 v[70:71], v[36:37], v[40:41], -v[70:71]
	v_mul_f64 v[36:37], v[36:37], v[42:43]
	v_fma_f64 v[40:41], v[38:39], v[40:41], v[36:37]
	s_waitcnt vmcnt(0)
	v_mul_f64 v[36:37], v[34:35], v[46:47]
	v_fma_f64 v[42:43], v[32:33], v[44:45], -v[36:37]
	v_mul_f64 v[32:33], v[32:33], v[46:47]
	v_fma_f64 v[44:45], v[34:35], v[44:45], v[32:33]
	v_lshlrev_b64 v[32:33], 4, v[58:59]
	v_add_co_u32_e64 v32, s[2:3], s12, v32
	v_addc_co_u32_e64 v33, s[2:3], v55, v33, s[2:3]
	v_add_co_u32_e64 v46, s[2:3], s4, v32
	v_addc_co_u32_e64 v47, s[2:3], 0, v33, s[2:3]
	;; [unrolled: 2-line block ×3, first 2 shown]
	global_load_dwordx4 v[32:35], v[74:75], off offset:288
	global_load_dwordx4 v[36:39], v[46:47], off offset:16
	s_mov_b32 s2, 0xe8584caa
	s_mov_b32 s3, 0x3febb67a
	;; [unrolled: 1-line block ×3, first 2 shown]
	s_waitcnt vmcnt(0) lgkmcnt(0)
	s_barrier
	v_mul_f64 v[46:47], v[30:31], v[34:35]
	v_fma_f64 v[46:47], v[28:29], v[32:33], -v[46:47]
	v_mul_f64 v[28:29], v[28:29], v[34:35]
	v_add_f64 v[34:35], v[70:71], v[42:43]
	v_fma_f64 v[74:75], v[30:31], v[32:33], v[28:29]
	v_mul_f64 v[28:29], v[26:27], v[38:39]
	v_add_f64 v[30:31], v[64:65], v[68:69]
	v_add_f64 v[32:33], v[72:73], -v[66:67]
	v_fma_f64 v[34:35], v[34:35], -0.5, v[16:17]
	v_fma_f64 v[76:77], v[24:25], v[36:37], -v[28:29]
	v_mul_f64 v[24:25], v[24:25], v[38:39]
	v_add_f64 v[28:29], v[64:65], -v[68:69]
	v_fma_f64 v[30:31], v[30:31], -0.5, v[22:23]
	v_add_f64 v[38:39], v[40:41], v[44:45]
	v_fma_f64 v[78:79], v[26:27], v[36:37], v[24:25]
	v_add_f64 v[26:27], v[72:73], v[66:67]
	v_add_f64 v[24:25], v[20:21], v[72:73]
	v_add_f64 v[36:37], v[40:41], -v[44:45]
	v_fma_f64 v[38:39], v[38:39], -0.5, v[18:19]
	v_fma_f64 v[26:27], v[26:27], -0.5, v[20:21]
	v_add_f64 v[24:25], v[24:25], v[66:67]
	v_fma_f64 v[20:21], v[28:29], s[2:3], v[26:27]
	v_fma_f64 v[28:29], v[28:29], s[4:5], v[26:27]
	v_add_f64 v[26:27], v[22:23], v[64:65]
	v_fma_f64 v[22:23], v[32:33], s[4:5], v[30:31]
	v_fma_f64 v[30:31], v[32:33], s[2:3], v[30:31]
	;; [unrolled: 3-line block ×3, first 2 shown]
	v_add_f64 v[34:35], v[18:19], v[40:41]
	v_add_f64 v[40:41], v[70:71], -v[42:43]
	v_add_f64 v[64:65], v[74:75], v[78:79]
	v_add_f64 v[26:27], v[26:27], v[68:69]
	;; [unrolled: 1-line block ×5, first 2 shown]
	v_add_f64 v[44:45], v[74:75], -v[78:79]
	v_fma_f64 v[18:19], v[40:41], s[4:5], v[38:39]
	v_fma_f64 v[38:39], v[40:41], s[2:3], v[38:39]
	v_add_f64 v[40:41], v[12:13], v[46:47]
	v_fma_f64 v[64:65], v[64:65], -0.5, v[14:15]
	v_fma_f64 v[42:43], v[42:43], -0.5, v[12:13]
	v_add_f64 v[46:47], v[46:47], -v[76:77]
	v_add_f64 v[40:41], v[40:41], v[76:77]
	v_fma_f64 v[12:13], v[44:45], s[2:3], v[42:43]
	v_fma_f64 v[44:45], v[44:45], s[4:5], v[42:43]
	v_add_f64 v[42:43], v[14:15], v[74:75]
	v_fma_f64 v[14:15], v[46:47], s[4:5], v[64:65]
	v_fma_f64 v[46:47], v[46:47], s[2:3], v[64:65]
	v_add_f64 v[42:43], v[42:43], v[78:79]
	ds_write_b128 v60, v[24:27]
	ds_write_b128 v60, v[20:23] offset:8640
	ds_write_b128 v60, v[28:31] offset:17280
	ds_write_b128 v63, v[32:35]
	ds_write_b128 v63, v[16:19] offset:8640
	ds_write_b128 v63, v[36:39] offset:17280
	ds_write_b128 v62, v[40:43]
	ds_write_b128 v62, v[12:15] offset:8640
	ds_write_b128 v62, v[44:47] offset:17280
	s_and_saveexec_b64 s[8:9], vcc
	s_cbranch_execz .LBB0_29
; %bb.28:
	v_subrev_u32_e32 v12, 54, v52
	v_cndmask_b32_e32 v12, v12, v56, vcc
	v_lshlrev_b32_e32 v58, 1, v12
	v_lshlrev_b64 v[12:13], 4, v[58:59]
	v_mov_b32_e32 v14, s13
	v_add_co_u32_e32 v12, vcc, s12, v12
	v_addc_co_u32_e32 v13, vcc, v14, v13, vcc
	v_add_co_u32_e32 v20, vcc, 0x2120, v12
	v_addc_co_u32_e32 v21, vcc, 0, v13, vcc
	;; [unrolled: 2-line block ×3, first 2 shown]
	global_load_dwordx4 v[12:15], v[22:23], off offset:288
	global_load_dwordx4 v[16:19], v[20:21], off offset:16
	s_waitcnt vmcnt(1)
	v_mul_f64 v[20:21], v[4:5], v[14:15]
	s_waitcnt vmcnt(0)
	v_mul_f64 v[22:23], v[8:9], v[18:19]
	v_mul_f64 v[14:15], v[6:7], v[14:15]
	;; [unrolled: 1-line block ×3, first 2 shown]
	v_fma_f64 v[6:7], v[6:7], v[12:13], v[20:21]
	v_fma_f64 v[10:11], v[10:11], v[16:17], v[22:23]
	v_fma_f64 v[4:5], v[4:5], v[12:13], -v[14:15]
	v_fma_f64 v[8:9], v[8:9], v[16:17], -v[18:19]
	v_add_f64 v[18:19], v[2:3], v[6:7]
	v_add_f64 v[12:13], v[6:7], v[10:11]
	v_add_f64 v[20:21], v[6:7], -v[10:11]
	v_add_f64 v[14:15], v[4:5], v[8:9]
	v_add_f64 v[16:17], v[4:5], -v[8:9]
	v_add_f64 v[4:5], v[0:1], v[4:5]
	v_fma_f64 v[12:13], v[12:13], -0.5, v[2:3]
	v_add_f64 v[2:3], v[18:19], v[10:11]
	v_fma_f64 v[14:15], v[14:15], -0.5, v[0:1]
	v_add_f64 v[0:1], v[4:5], v[8:9]
	v_fma_f64 v[10:11], v[16:17], s[4:5], v[12:13]
	v_fma_f64 v[6:7], v[16:17], s[2:3], v[12:13]
	;; [unrolled: 1-line block ×4, first 2 shown]
	ds_write_b128 v60, v[0:3] offset:7776
	ds_write_b128 v60, v[8:11] offset:16416
	;; [unrolled: 1-line block ×3, first 2 shown]
.LBB0_29:
	s_or_b64 exec, exec, s[8:9]
	s_waitcnt lgkmcnt(0)
	s_barrier
	ds_read_b128 v[4:7], v60
	s_add_u32 s4, s12, 0x64a0
	v_lshlrev_b32_e32 v0, 4, v52
	s_addc_u32 s5, s13, 0
	v_sub_u32_e32 v12, 0, v0
	v_cmp_ne_u32_e32 vcc, 0, v52
                                        ; implicit-def: $vgpr0_vgpr1
                                        ; implicit-def: $vgpr8_vgpr9
                                        ; implicit-def: $vgpr10_vgpr11
	s_and_saveexec_b64 s[2:3], vcc
	s_xor_b64 s[2:3], exec, s[2:3]
	s_cbranch_execz .LBB0_31
; %bb.30:
	v_mov_b32_e32 v53, 0
	v_lshlrev_b64 v[0:1], 4, v[52:53]
	v_mov_b32_e32 v2, s5
	v_add_co_u32_e32 v0, vcc, s4, v0
	v_addc_co_u32_e32 v1, vcc, v2, v1, vcc
	global_load_dwordx4 v[13:16], v[0:1], off
	ds_read_b128 v[0:3], v12 offset:25920
	s_waitcnt lgkmcnt(0)
	v_add_f64 v[8:9], v[4:5], -v[0:1]
	v_add_f64 v[10:11], v[6:7], v[2:3]
	v_add_f64 v[2:3], v[6:7], -v[2:3]
	v_add_f64 v[0:1], v[4:5], v[0:1]
	v_mul_f64 v[6:7], v[8:9], 0.5
	v_mul_f64 v[4:5], v[10:11], 0.5
	v_mul_f64 v[2:3], v[2:3], 0.5
	s_waitcnt vmcnt(0)
	v_mul_f64 v[8:9], v[6:7], v[15:16]
	v_fma_f64 v[10:11], v[4:5], v[15:16], v[2:3]
	v_fma_f64 v[2:3], v[4:5], v[15:16], -v[2:3]
	v_fma_f64 v[17:18], v[0:1], 0.5, v[8:9]
	v_fma_f64 v[0:1], v[0:1], 0.5, -v[8:9]
	v_fma_f64 v[10:11], -v[13:14], v[6:7], v[10:11]
	v_fma_f64 v[2:3], -v[13:14], v[6:7], v[2:3]
	v_fma_f64 v[8:9], v[4:5], v[13:14], v[17:18]
	v_fma_f64 v[0:1], -v[4:5], v[13:14], v[0:1]
                                        ; implicit-def: $vgpr4_vgpr5
.LBB0_31:
	s_andn2_saveexec_b64 s[2:3], s[2:3]
	s_cbranch_execz .LBB0_33
; %bb.32:
	s_waitcnt lgkmcnt(0)
	v_add_f64 v[8:9], v[4:5], v[6:7]
	v_add_f64 v[0:1], v[4:5], -v[6:7]
	v_mov_b32_e32 v4, 0
	ds_read_b64 v[2:3], v4 offset:12968
	v_mov_b32_e32 v10, 0
	v_mov_b32_e32 v11, 0
	s_waitcnt lgkmcnt(0)
	v_xor_b32_e32 v3, 0x80000000, v3
	ds_write_b64 v4, v[2:3] offset:12968
	v_mov_b32_e32 v2, v10
	v_mov_b32_e32 v3, v11
.LBB0_33:
	s_or_b64 exec, exec, s[2:3]
	v_mov_b32_e32 v55, 0
	s_waitcnt lgkmcnt(0)
	v_lshlrev_b64 v[4:5], 4, v[54:55]
	v_mov_b32_e32 v6, s5
	v_add_co_u32_e32 v4, vcc, s4, v4
	v_addc_co_u32_e32 v5, vcc, v6, v5, vcc
	global_load_dwordx4 v[4:7], v[4:5], off
	v_mov_b32_e32 v58, v55
	v_lshlrev_b64 v[13:14], 4, v[57:58]
	v_mov_b32_e32 v15, s5
	v_add_co_u32_e32 v13, vcc, s4, v13
	v_addc_co_u32_e32 v14, vcc, v15, v14, vcc
	global_load_dwordx4 v[13:16], v[13:14], off
	ds_write2_b64 v60, v[8:9], v[10:11] offset1:1
	ds_write_b128 v12, v[0:3] offset:25920
	ds_read_b128 v[0:3], v63
	ds_read_b128 v[8:11], v12 offset:23328
	v_mov_b32_e32 v57, v55
	v_mov_b32_e32 v25, s5
	v_add_u32_e32 v54, 0x288, v52
	s_waitcnt lgkmcnt(0)
	v_add_f64 v[17:18], v[0:1], -v[8:9]
	v_add_f64 v[19:20], v[2:3], v[10:11]
	v_add_f64 v[2:3], v[2:3], -v[10:11]
	v_add_f64 v[0:1], v[0:1], v[8:9]
	v_mul_f64 v[10:11], v[17:18], 0.5
	v_mul_f64 v[17:18], v[19:20], 0.5
	;; [unrolled: 1-line block ×3, first 2 shown]
	v_lshlrev_b64 v[19:20], 4, v[56:57]
	s_waitcnt vmcnt(1)
	v_mul_f64 v[8:9], v[10:11], v[6:7]
	v_fma_f64 v[21:22], v[17:18], v[6:7], v[2:3]
	v_fma_f64 v[6:7], v[17:18], v[6:7], -v[2:3]
	v_fma_f64 v[23:24], v[0:1], 0.5, v[8:9]
	v_fma_f64 v[8:9], v[0:1], 0.5, -v[8:9]
	v_add_co_u32_e32 v0, vcc, s4, v19
	v_addc_co_u32_e32 v1, vcc, v25, v20, vcc
	global_load_dwordx4 v[0:3], v[0:1], off
	v_fma_f64 v[19:20], -v[4:5], v[10:11], v[21:22]
	v_fma_f64 v[6:7], -v[4:5], v[10:11], v[6:7]
	v_fma_f64 v[10:11], v[17:18], v[4:5], v[23:24]
	v_fma_f64 v[4:5], -v[17:18], v[4:5], v[8:9]
	ds_write2_b64 v63, v[10:11], v[19:20] offset1:1
	ds_write_b128 v12, v[4:7] offset:23328
	ds_read_b128 v[4:7], v62
	ds_read_b128 v[8:11], v12 offset:20736
	s_waitcnt lgkmcnt(0)
	v_add_f64 v[17:18], v[4:5], -v[8:9]
	v_add_f64 v[19:20], v[6:7], v[10:11]
	v_add_f64 v[6:7], v[6:7], -v[10:11]
	v_add_f64 v[4:5], v[4:5], v[8:9]
	v_mul_f64 v[10:11], v[17:18], 0.5
	v_mul_f64 v[17:18], v[19:20], 0.5
	;; [unrolled: 1-line block ×3, first 2 shown]
	v_lshlrev_b64 v[19:20], 4, v[54:55]
	s_waitcnt vmcnt(1)
	v_mul_f64 v[8:9], v[10:11], v[15:16]
	v_fma_f64 v[21:22], v[17:18], v[15:16], v[6:7]
	v_fma_f64 v[15:16], v[17:18], v[15:16], -v[6:7]
	v_fma_f64 v[23:24], v[4:5], 0.5, v[8:9]
	v_fma_f64 v[8:9], v[4:5], 0.5, -v[8:9]
	v_add_co_u32_e32 v4, vcc, s4, v19
	v_addc_co_u32_e32 v5, vcc, v25, v20, vcc
	global_load_dwordx4 v[4:7], v[4:5], off
	v_fma_f64 v[19:20], -v[13:14], v[10:11], v[21:22]
	v_fma_f64 v[10:11], -v[13:14], v[10:11], v[15:16]
	v_fma_f64 v[15:16], v[17:18], v[13:14], v[23:24]
	v_fma_f64 v[8:9], -v[17:18], v[13:14], v[8:9]
	ds_write2_b64 v62, v[15:16], v[19:20] offset1:1
	ds_write_b128 v12, v[8:11] offset:20736
	ds_read_b128 v[8:11], v61
	ds_read_b128 v[13:16], v12 offset:18144
	s_waitcnt lgkmcnt(0)
	v_add_f64 v[17:18], v[8:9], -v[13:14]
	v_add_f64 v[19:20], v[10:11], v[15:16]
	v_add_f64 v[10:11], v[10:11], -v[15:16]
	v_add_f64 v[8:9], v[8:9], v[13:14]
	v_mul_f64 v[15:16], v[17:18], 0.5
	v_mul_f64 v[17:18], v[19:20], 0.5
	;; [unrolled: 1-line block ×3, first 2 shown]
	s_waitcnt vmcnt(1)
	v_mul_f64 v[13:14], v[15:16], v[2:3]
	v_fma_f64 v[19:20], v[17:18], v[2:3], v[10:11]
	v_fma_f64 v[2:3], v[17:18], v[2:3], -v[10:11]
	v_fma_f64 v[10:11], v[8:9], 0.5, v[13:14]
	v_fma_f64 v[8:9], v[8:9], 0.5, -v[13:14]
	v_fma_f64 v[13:14], -v[0:1], v[15:16], v[19:20]
	v_fma_f64 v[2:3], -v[0:1], v[15:16], v[2:3]
	v_fma_f64 v[10:11], v[17:18], v[0:1], v[10:11]
	v_fma_f64 v[0:1], -v[17:18], v[0:1], v[8:9]
	ds_write2_b64 v61, v[10:11], v[13:14] offset1:1
	ds_write_b128 v12, v[0:3] offset:18144
	ds_read_b128 v[0:3], v60 offset:10368
	ds_read_b128 v[8:11], v12 offset:15552
	s_waitcnt lgkmcnt(0)
	v_add_f64 v[13:14], v[0:1], -v[8:9]
	v_add_f64 v[15:16], v[2:3], v[10:11]
	v_add_f64 v[2:3], v[2:3], -v[10:11]
	v_add_f64 v[0:1], v[0:1], v[8:9]
	v_mul_f64 v[10:11], v[13:14], 0.5
	v_mul_f64 v[13:14], v[15:16], 0.5
	;; [unrolled: 1-line block ×3, first 2 shown]
	s_waitcnt vmcnt(0)
	v_mul_f64 v[8:9], v[10:11], v[6:7]
	v_fma_f64 v[15:16], v[13:14], v[6:7], v[2:3]
	v_fma_f64 v[2:3], v[13:14], v[6:7], -v[2:3]
	v_fma_f64 v[6:7], v[0:1], 0.5, v[8:9]
	v_fma_f64 v[0:1], v[0:1], 0.5, -v[8:9]
	v_fma_f64 v[8:9], -v[4:5], v[10:11], v[15:16]
	v_fma_f64 v[2:3], -v[4:5], v[10:11], v[2:3]
	v_fma_f64 v[6:7], v[13:14], v[4:5], v[6:7]
	v_fma_f64 v[0:1], -v[13:14], v[4:5], v[0:1]
	v_add_u32_e32 v4, 0x2800, v60
	ds_write2_b64 v4, v[6:7], v[8:9] offset0:16 offset1:17
	ds_write_b128 v12, v[0:3] offset:15552
	s_waitcnt lgkmcnt(0)
	s_barrier
	s_and_saveexec_b64 s[2:3], s[0:1]
	s_cbranch_execz .LBB0_36
; %bb.34:
	v_mul_lo_u32 v2, s7, v50
	v_mul_lo_u32 v3, s6, v51
	v_mad_u64_u32 v[0:1], s[0:1], s6, v50, 0
	v_mov_b32_e32 v6, s11
	v_lshl_add_u32 v12, v52, 4, 0
	v_add3_u32 v1, v1, v3, v2
	v_lshlrev_b64 v[0:1], 4, v[0:1]
	v_mov_b32_e32 v53, v55
	v_add_co_u32_e32 v0, vcc, s10, v0
	v_addc_co_u32_e32 v8, vcc, v6, v1, vcc
	v_lshlrev_b64 v[6:7], 4, v[48:49]
	ds_read_b128 v[2:5], v12
	v_add_co_u32_e32 v1, vcc, v0, v6
	v_addc_co_u32_e32 v0, vcc, v8, v7, vcc
	v_lshlrev_b64 v[6:7], 4, v[52:53]
	v_add_u32_e32 v54, 0xa2, v52
	v_add_co_u32_e32 v10, vcc, v1, v6
	v_addc_co_u32_e32 v11, vcc, v0, v7, vcc
	ds_read_b128 v[6:9], v12 offset:2592
	s_waitcnt lgkmcnt(1)
	global_store_dwordx4 v[10:11], v[2:5], off
	s_movk_i32 s0, 0xa1
	v_lshlrev_b64 v[2:3], 4, v[54:55]
	v_add_u32_e32 v54, 0x144, v52
	v_add_co_u32_e32 v2, vcc, v1, v2
	v_addc_co_u32_e32 v3, vcc, v0, v3, vcc
	s_waitcnt lgkmcnt(0)
	global_store_dwordx4 v[2:3], v[6:9], off
	ds_read_b128 v[2:5], v12 offset:5184
	v_lshlrev_b64 v[6:7], 4, v[54:55]
	v_add_u32_e32 v54, 0x1e6, v52
	v_add_co_u32_e32 v10, vcc, v1, v6
	v_addc_co_u32_e32 v11, vcc, v0, v7, vcc
	ds_read_b128 v[6:9], v12 offset:7776
	s_waitcnt lgkmcnt(1)
	global_store_dwordx4 v[10:11], v[2:5], off
	s_nop 0
	v_lshlrev_b64 v[2:3], 4, v[54:55]
	v_add_u32_e32 v54, 0x288, v52
	v_add_co_u32_e32 v2, vcc, v1, v2
	v_addc_co_u32_e32 v3, vcc, v0, v3, vcc
	s_waitcnt lgkmcnt(0)
	global_store_dwordx4 v[2:3], v[6:9], off
	ds_read_b128 v[2:5], v12 offset:10368
	v_lshlrev_b64 v[6:7], 4, v[54:55]
	v_add_u32_e32 v54, 0x32a, v52
	v_add_co_u32_e32 v10, vcc, v1, v6
	v_addc_co_u32_e32 v11, vcc, v0, v7, vcc
	ds_read_b128 v[6:9], v12 offset:12960
	s_waitcnt lgkmcnt(1)
	global_store_dwordx4 v[10:11], v[2:5], off
	s_nop 0
	v_lshlrev_b64 v[2:3], 4, v[54:55]
	v_add_u32_e32 v54, 0x3cc, v52
	v_add_co_u32_e32 v2, vcc, v1, v2
	v_addc_co_u32_e32 v3, vcc, v0, v3, vcc
	s_waitcnt lgkmcnt(0)
	global_store_dwordx4 v[2:3], v[6:9], off
	ds_read_b128 v[2:5], v12 offset:15552
	v_lshlrev_b64 v[6:7], 4, v[54:55]
	v_add_u32_e32 v54, 0x46e, v52
	v_add_co_u32_e32 v10, vcc, v1, v6
	v_addc_co_u32_e32 v11, vcc, v0, v7, vcc
	ds_read_b128 v[6:9], v12 offset:18144
	s_waitcnt lgkmcnt(1)
	global_store_dwordx4 v[10:11], v[2:5], off
	s_nop 0
	v_lshlrev_b64 v[2:3], 4, v[54:55]
	v_add_u32_e32 v54, 0x510, v52
	v_add_co_u32_e32 v2, vcc, v1, v2
	v_addc_co_u32_e32 v3, vcc, v0, v3, vcc
	s_waitcnt lgkmcnt(0)
	global_store_dwordx4 v[2:3], v[6:9], off
	ds_read_b128 v[2:5], v12 offset:20736
	v_lshlrev_b64 v[6:7], 4, v[54:55]
	v_add_u32_e32 v54, 0x5b2, v52
	v_add_co_u32_e32 v10, vcc, v1, v6
	v_addc_co_u32_e32 v11, vcc, v0, v7, vcc
	ds_read_b128 v[6:9], v12 offset:23328
	s_waitcnt lgkmcnt(1)
	global_store_dwordx4 v[10:11], v[2:5], off
	s_nop 0
	v_lshlrev_b64 v[2:3], 4, v[54:55]
	v_add_co_u32_e32 v2, vcc, v1, v2
	v_addc_co_u32_e32 v3, vcc, v0, v3, vcc
	v_cmp_eq_u32_e32 vcc, s0, v52
	s_waitcnt lgkmcnt(0)
	global_store_dwordx4 v[2:3], v[6:9], off
	s_and_b64 exec, exec, vcc
	s_cbranch_execz .LBB0_36
; %bb.35:
	v_mov_b32_e32 v2, 0
	ds_read_b128 v[2:5], v2 offset:25920
	v_add_co_u32_e32 v6, vcc, 0x6000, v1
	v_addc_co_u32_e32 v7, vcc, 0, v0, vcc
	s_waitcnt lgkmcnt(0)
	global_store_dwordx4 v[6:7], v[2:5], off offset:1344
.LBB0_36:
	s_endpgm
	.section	.rodata,"a",@progbits
	.p2align	6, 0x0
	.amdhsa_kernel fft_rtc_fwd_len1620_factors_10_3_3_6_3_wgs_162_tpt_162_halfLds_dp_op_CI_CI_unitstride_sbrr_R2C_dirReg
		.amdhsa_group_segment_fixed_size 0
		.amdhsa_private_segment_fixed_size 0
		.amdhsa_kernarg_size 104
		.amdhsa_user_sgpr_count 6
		.amdhsa_user_sgpr_private_segment_buffer 1
		.amdhsa_user_sgpr_dispatch_ptr 0
		.amdhsa_user_sgpr_queue_ptr 0
		.amdhsa_user_sgpr_kernarg_segment_ptr 1
		.amdhsa_user_sgpr_dispatch_id 0
		.amdhsa_user_sgpr_flat_scratch_init 0
		.amdhsa_user_sgpr_private_segment_size 0
		.amdhsa_uses_dynamic_stack 0
		.amdhsa_system_sgpr_private_segment_wavefront_offset 0
		.amdhsa_system_sgpr_workgroup_id_x 1
		.amdhsa_system_sgpr_workgroup_id_y 0
		.amdhsa_system_sgpr_workgroup_id_z 0
		.amdhsa_system_sgpr_workgroup_info 0
		.amdhsa_system_vgpr_workitem_id 0
		.amdhsa_next_free_vgpr 94
		.amdhsa_next_free_sgpr 28
		.amdhsa_reserve_vcc 1
		.amdhsa_reserve_flat_scratch 0
		.amdhsa_float_round_mode_32 0
		.amdhsa_float_round_mode_16_64 0
		.amdhsa_float_denorm_mode_32 3
		.amdhsa_float_denorm_mode_16_64 3
		.amdhsa_dx10_clamp 1
		.amdhsa_ieee_mode 1
		.amdhsa_fp16_overflow 0
		.amdhsa_exception_fp_ieee_invalid_op 0
		.amdhsa_exception_fp_denorm_src 0
		.amdhsa_exception_fp_ieee_div_zero 0
		.amdhsa_exception_fp_ieee_overflow 0
		.amdhsa_exception_fp_ieee_underflow 0
		.amdhsa_exception_fp_ieee_inexact 0
		.amdhsa_exception_int_div_zero 0
	.end_amdhsa_kernel
	.text
.Lfunc_end0:
	.size	fft_rtc_fwd_len1620_factors_10_3_3_6_3_wgs_162_tpt_162_halfLds_dp_op_CI_CI_unitstride_sbrr_R2C_dirReg, .Lfunc_end0-fft_rtc_fwd_len1620_factors_10_3_3_6_3_wgs_162_tpt_162_halfLds_dp_op_CI_CI_unitstride_sbrr_R2C_dirReg
                                        ; -- End function
	.section	.AMDGPU.csdata,"",@progbits
; Kernel info:
; codeLenInByte = 10292
; NumSgprs: 32
; NumVgprs: 94
; ScratchSize: 0
; MemoryBound: 0
; FloatMode: 240
; IeeeMode: 1
; LDSByteSize: 0 bytes/workgroup (compile time only)
; SGPRBlocks: 3
; VGPRBlocks: 23
; NumSGPRsForWavesPerEU: 32
; NumVGPRsForWavesPerEU: 94
; Occupancy: 2
; WaveLimiterHint : 1
; COMPUTE_PGM_RSRC2:SCRATCH_EN: 0
; COMPUTE_PGM_RSRC2:USER_SGPR: 6
; COMPUTE_PGM_RSRC2:TRAP_HANDLER: 0
; COMPUTE_PGM_RSRC2:TGID_X_EN: 1
; COMPUTE_PGM_RSRC2:TGID_Y_EN: 0
; COMPUTE_PGM_RSRC2:TGID_Z_EN: 0
; COMPUTE_PGM_RSRC2:TIDIG_COMP_CNT: 0
	.type	__hip_cuid_cf7b3a681035da0e,@object ; @__hip_cuid_cf7b3a681035da0e
	.section	.bss,"aw",@nobits
	.globl	__hip_cuid_cf7b3a681035da0e
__hip_cuid_cf7b3a681035da0e:
	.byte	0                               ; 0x0
	.size	__hip_cuid_cf7b3a681035da0e, 1

	.ident	"AMD clang version 19.0.0git (https://github.com/RadeonOpenCompute/llvm-project roc-6.4.0 25133 c7fe45cf4b819c5991fe208aaa96edf142730f1d)"
	.section	".note.GNU-stack","",@progbits
	.addrsig
	.addrsig_sym __hip_cuid_cf7b3a681035da0e
	.amdgpu_metadata
---
amdhsa.kernels:
  - .args:
      - .actual_access:  read_only
        .address_space:  global
        .offset:         0
        .size:           8
        .value_kind:     global_buffer
      - .offset:         8
        .size:           8
        .value_kind:     by_value
      - .actual_access:  read_only
        .address_space:  global
        .offset:         16
        .size:           8
        .value_kind:     global_buffer
      - .actual_access:  read_only
        .address_space:  global
        .offset:         24
        .size:           8
        .value_kind:     global_buffer
      - .actual_access:  read_only
        .address_space:  global
        .offset:         32
        .size:           8
        .value_kind:     global_buffer
      - .offset:         40
        .size:           8
        .value_kind:     by_value
      - .actual_access:  read_only
        .address_space:  global
        .offset:         48
        .size:           8
        .value_kind:     global_buffer
      - .actual_access:  read_only
        .address_space:  global
        .offset:         56
        .size:           8
        .value_kind:     global_buffer
      - .offset:         64
        .size:           4
        .value_kind:     by_value
      - .actual_access:  read_only
        .address_space:  global
        .offset:         72
        .size:           8
        .value_kind:     global_buffer
      - .actual_access:  read_only
        .address_space:  global
        .offset:         80
        .size:           8
        .value_kind:     global_buffer
      - .actual_access:  read_only
        .address_space:  global
        .offset:         88
        .size:           8
        .value_kind:     global_buffer
      - .actual_access:  write_only
        .address_space:  global
        .offset:         96
        .size:           8
        .value_kind:     global_buffer
    .group_segment_fixed_size: 0
    .kernarg_segment_align: 8
    .kernarg_segment_size: 104
    .language:       OpenCL C
    .language_version:
      - 2
      - 0
    .max_flat_workgroup_size: 162
    .name:           fft_rtc_fwd_len1620_factors_10_3_3_6_3_wgs_162_tpt_162_halfLds_dp_op_CI_CI_unitstride_sbrr_R2C_dirReg
    .private_segment_fixed_size: 0
    .sgpr_count:     32
    .sgpr_spill_count: 0
    .symbol:         fft_rtc_fwd_len1620_factors_10_3_3_6_3_wgs_162_tpt_162_halfLds_dp_op_CI_CI_unitstride_sbrr_R2C_dirReg.kd
    .uniform_work_group_size: 1
    .uses_dynamic_stack: false
    .vgpr_count:     94
    .vgpr_spill_count: 0
    .wavefront_size: 64
amdhsa.target:   amdgcn-amd-amdhsa--gfx906
amdhsa.version:
  - 1
  - 2
...

	.end_amdgpu_metadata
